;; amdgpu-corpus repo=ROCm/rocFFT kind=compiled arch=gfx906 opt=O3
	.text
	.amdgcn_target "amdgcn-amd-amdhsa--gfx906"
	.amdhsa_code_object_version 6
	.protected	fft_rtc_fwd_len1521_factors_13_3_3_13_wgs_117_tpt_117_halfLds_sp_ip_CI_unitstride_sbrr_dirReg ; -- Begin function fft_rtc_fwd_len1521_factors_13_3_3_13_wgs_117_tpt_117_halfLds_sp_ip_CI_unitstride_sbrr_dirReg
	.globl	fft_rtc_fwd_len1521_factors_13_3_3_13_wgs_117_tpt_117_halfLds_sp_ip_CI_unitstride_sbrr_dirReg
	.p2align	8
	.type	fft_rtc_fwd_len1521_factors_13_3_3_13_wgs_117_tpt_117_halfLds_sp_ip_CI_unitstride_sbrr_dirReg,@function
fft_rtc_fwd_len1521_factors_13_3_3_13_wgs_117_tpt_117_halfLds_sp_ip_CI_unitstride_sbrr_dirReg: ; @fft_rtc_fwd_len1521_factors_13_3_3_13_wgs_117_tpt_117_halfLds_sp_ip_CI_unitstride_sbrr_dirReg
; %bb.0:
	s_load_dwordx2 s[2:3], s[4:5], 0x50
	s_load_dwordx4 s[8:11], s[4:5], 0x0
	s_load_dwordx2 s[12:13], s[4:5], 0x18
	v_mul_u32_u24_e32 v1, 0x231, v0
	v_add_u32_sdwa v5, s6, v1 dst_sel:DWORD dst_unused:UNUSED_PAD src0_sel:DWORD src1_sel:WORD_1
	v_mov_b32_e32 v3, 0
	s_waitcnt lgkmcnt(0)
	v_cmp_lt_u64_e64 s[0:1], s[10:11], 2
	v_mov_b32_e32 v1, 0
	v_mov_b32_e32 v6, v3
	s_and_b64 vcc, exec, s[0:1]
	v_mov_b32_e32 v2, 0
	s_cbranch_vccnz .LBB0_8
; %bb.1:
	s_load_dwordx2 s[0:1], s[4:5], 0x10
	s_add_u32 s6, s12, 8
	s_addc_u32 s7, s13, 0
	v_mov_b32_e32 v1, 0
	v_mov_b32_e32 v2, 0
	s_waitcnt lgkmcnt(0)
	s_add_u32 s14, s0, 8
	s_addc_u32 s15, s1, 0
	s_mov_b64 s[16:17], 1
.LBB0_2:                                ; =>This Inner Loop Header: Depth=1
	s_load_dwordx2 s[18:19], s[14:15], 0x0
                                        ; implicit-def: $vgpr7_vgpr8
	s_waitcnt lgkmcnt(0)
	v_or_b32_e32 v4, s19, v6
	v_cmp_ne_u64_e32 vcc, 0, v[3:4]
	s_and_saveexec_b64 s[0:1], vcc
	s_xor_b64 s[20:21], exec, s[0:1]
	s_cbranch_execz .LBB0_4
; %bb.3:                                ;   in Loop: Header=BB0_2 Depth=1
	v_cvt_f32_u32_e32 v4, s18
	v_cvt_f32_u32_e32 v7, s19
	s_sub_u32 s0, 0, s18
	s_subb_u32 s1, 0, s19
	v_mac_f32_e32 v4, 0x4f800000, v7
	v_rcp_f32_e32 v4, v4
	v_mul_f32_e32 v4, 0x5f7ffffc, v4
	v_mul_f32_e32 v7, 0x2f800000, v4
	v_trunc_f32_e32 v7, v7
	v_mac_f32_e32 v4, 0xcf800000, v7
	v_cvt_u32_f32_e32 v7, v7
	v_cvt_u32_f32_e32 v4, v4
	v_mul_lo_u32 v8, s0, v7
	v_mul_hi_u32 v9, s0, v4
	v_mul_lo_u32 v11, s1, v4
	v_mul_lo_u32 v10, s0, v4
	v_add_u32_e32 v8, v9, v8
	v_add_u32_e32 v8, v8, v11
	v_mul_hi_u32 v9, v4, v10
	v_mul_lo_u32 v11, v4, v8
	v_mul_hi_u32 v13, v4, v8
	v_mul_hi_u32 v12, v7, v10
	v_mul_lo_u32 v10, v7, v10
	v_mul_hi_u32 v14, v7, v8
	v_add_co_u32_e32 v9, vcc, v9, v11
	v_addc_co_u32_e32 v11, vcc, 0, v13, vcc
	v_mul_lo_u32 v8, v7, v8
	v_add_co_u32_e32 v9, vcc, v9, v10
	v_addc_co_u32_e32 v9, vcc, v11, v12, vcc
	v_addc_co_u32_e32 v10, vcc, 0, v14, vcc
	v_add_co_u32_e32 v8, vcc, v9, v8
	v_addc_co_u32_e32 v9, vcc, 0, v10, vcc
	v_add_co_u32_e32 v4, vcc, v4, v8
	v_addc_co_u32_e32 v7, vcc, v7, v9, vcc
	v_mul_lo_u32 v8, s0, v7
	v_mul_hi_u32 v9, s0, v4
	v_mul_lo_u32 v10, s1, v4
	v_mul_lo_u32 v11, s0, v4
	v_add_u32_e32 v8, v9, v8
	v_add_u32_e32 v8, v8, v10
	v_mul_lo_u32 v12, v4, v8
	v_mul_hi_u32 v13, v4, v11
	v_mul_hi_u32 v14, v4, v8
	;; [unrolled: 1-line block ×3, first 2 shown]
	v_mul_lo_u32 v11, v7, v11
	v_mul_hi_u32 v9, v7, v8
	v_add_co_u32_e32 v12, vcc, v13, v12
	v_addc_co_u32_e32 v13, vcc, 0, v14, vcc
	v_mul_lo_u32 v8, v7, v8
	v_add_co_u32_e32 v11, vcc, v12, v11
	v_addc_co_u32_e32 v10, vcc, v13, v10, vcc
	v_addc_co_u32_e32 v9, vcc, 0, v9, vcc
	v_add_co_u32_e32 v8, vcc, v10, v8
	v_addc_co_u32_e32 v9, vcc, 0, v9, vcc
	v_add_co_u32_e32 v4, vcc, v4, v8
	v_addc_co_u32_e32 v9, vcc, v7, v9, vcc
	v_mad_u64_u32 v[7:8], s[0:1], v5, v9, 0
	v_mul_hi_u32 v10, v5, v4
	v_add_co_u32_e32 v11, vcc, v10, v7
	v_addc_co_u32_e32 v12, vcc, 0, v8, vcc
	v_mad_u64_u32 v[7:8], s[0:1], v6, v4, 0
	v_mad_u64_u32 v[9:10], s[0:1], v6, v9, 0
	v_add_co_u32_e32 v4, vcc, v11, v7
	v_addc_co_u32_e32 v4, vcc, v12, v8, vcc
	v_addc_co_u32_e32 v7, vcc, 0, v10, vcc
	v_add_co_u32_e32 v4, vcc, v4, v9
	v_addc_co_u32_e32 v9, vcc, 0, v7, vcc
	v_mul_lo_u32 v10, s19, v4
	v_mul_lo_u32 v11, s18, v9
	v_mad_u64_u32 v[7:8], s[0:1], s18, v4, 0
	v_add3_u32 v8, v8, v11, v10
	v_sub_u32_e32 v10, v6, v8
	v_mov_b32_e32 v11, s19
	v_sub_co_u32_e32 v7, vcc, v5, v7
	v_subb_co_u32_e64 v10, s[0:1], v10, v11, vcc
	v_subrev_co_u32_e64 v11, s[0:1], s18, v7
	v_subbrev_co_u32_e64 v10, s[0:1], 0, v10, s[0:1]
	v_cmp_le_u32_e64 s[0:1], s19, v10
	v_cndmask_b32_e64 v12, 0, -1, s[0:1]
	v_cmp_le_u32_e64 s[0:1], s18, v11
	v_cndmask_b32_e64 v11, 0, -1, s[0:1]
	v_cmp_eq_u32_e64 s[0:1], s19, v10
	v_cndmask_b32_e64 v10, v12, v11, s[0:1]
	v_add_co_u32_e64 v11, s[0:1], 2, v4
	v_addc_co_u32_e64 v12, s[0:1], 0, v9, s[0:1]
	v_add_co_u32_e64 v13, s[0:1], 1, v4
	v_addc_co_u32_e64 v14, s[0:1], 0, v9, s[0:1]
	v_subb_co_u32_e32 v8, vcc, v6, v8, vcc
	v_cmp_ne_u32_e64 s[0:1], 0, v10
	v_cmp_le_u32_e32 vcc, s19, v8
	v_cndmask_b32_e64 v10, v14, v12, s[0:1]
	v_cndmask_b32_e64 v12, 0, -1, vcc
	v_cmp_le_u32_e32 vcc, s18, v7
	v_cndmask_b32_e64 v7, 0, -1, vcc
	v_cmp_eq_u32_e32 vcc, s19, v8
	v_cndmask_b32_e32 v7, v12, v7, vcc
	v_cmp_ne_u32_e32 vcc, 0, v7
	v_cndmask_b32_e64 v7, v13, v11, s[0:1]
	v_cndmask_b32_e32 v8, v9, v10, vcc
	v_cndmask_b32_e32 v7, v4, v7, vcc
.LBB0_4:                                ;   in Loop: Header=BB0_2 Depth=1
	s_andn2_saveexec_b64 s[0:1], s[20:21]
	s_cbranch_execz .LBB0_6
; %bb.5:                                ;   in Loop: Header=BB0_2 Depth=1
	v_cvt_f32_u32_e32 v4, s18
	s_sub_i32 s20, 0, s18
	v_rcp_iflag_f32_e32 v4, v4
	v_mul_f32_e32 v4, 0x4f7ffffe, v4
	v_cvt_u32_f32_e32 v4, v4
	v_mul_lo_u32 v7, s20, v4
	v_mul_hi_u32 v7, v4, v7
	v_add_u32_e32 v4, v4, v7
	v_mul_hi_u32 v4, v5, v4
	v_mul_lo_u32 v7, v4, s18
	v_add_u32_e32 v8, 1, v4
	v_sub_u32_e32 v7, v5, v7
	v_subrev_u32_e32 v9, s18, v7
	v_cmp_le_u32_e32 vcc, s18, v7
	v_cndmask_b32_e32 v7, v7, v9, vcc
	v_cndmask_b32_e32 v4, v4, v8, vcc
	v_add_u32_e32 v8, 1, v4
	v_cmp_le_u32_e32 vcc, s18, v7
	v_cndmask_b32_e32 v7, v4, v8, vcc
	v_mov_b32_e32 v8, v3
.LBB0_6:                                ;   in Loop: Header=BB0_2 Depth=1
	s_or_b64 exec, exec, s[0:1]
	v_mul_lo_u32 v4, v8, s18
	v_mul_lo_u32 v11, v7, s19
	v_mad_u64_u32 v[9:10], s[0:1], v7, s18, 0
	s_load_dwordx2 s[0:1], s[6:7], 0x0
	s_add_u32 s16, s16, 1
	v_add3_u32 v4, v10, v11, v4
	v_sub_co_u32_e32 v5, vcc, v5, v9
	v_subb_co_u32_e32 v4, vcc, v6, v4, vcc
	s_waitcnt lgkmcnt(0)
	v_mul_lo_u32 v4, s0, v4
	v_mul_lo_u32 v6, s1, v5
	v_mad_u64_u32 v[1:2], s[0:1], s0, v5, v[1:2]
	s_addc_u32 s17, s17, 0
	s_add_u32 s6, s6, 8
	v_add3_u32 v2, v6, v2, v4
	v_mov_b32_e32 v4, s10
	v_mov_b32_e32 v5, s11
	s_addc_u32 s7, s7, 0
	v_cmp_ge_u64_e32 vcc, s[16:17], v[4:5]
	s_add_u32 s14, s14, 8
	s_addc_u32 s15, s15, 0
	s_cbranch_vccnz .LBB0_9
; %bb.7:                                ;   in Loop: Header=BB0_2 Depth=1
	v_mov_b32_e32 v5, v7
	v_mov_b32_e32 v6, v8
	s_branch .LBB0_2
.LBB0_8:
	v_mov_b32_e32 v8, v6
	v_mov_b32_e32 v7, v5
.LBB0_9:
	s_lshl_b64 s[0:1], s[10:11], 3
	s_add_u32 s0, s12, s0
	s_addc_u32 s1, s13, s1
	s_load_dwordx2 s[6:7], s[0:1], 0x0
	s_load_dwordx2 s[10:11], s[4:5], 0x20
                                        ; implicit-def: $vgpr27
                                        ; implicit-def: $vgpr21
                                        ; implicit-def: $vgpr17
                                        ; implicit-def: $vgpr15
                                        ; implicit-def: $vgpr11
                                        ; implicit-def: $vgpr31
                                        ; implicit-def: $vgpr29
                                        ; implicit-def: $vgpr23
                                        ; implicit-def: $vgpr19
                                        ; implicit-def: $vgpr13
                                        ; implicit-def: $vgpr9
	s_waitcnt lgkmcnt(0)
	v_mad_u64_u32 v[5:6], s[0:1], s6, v7, v[1:2]
	v_mul_lo_u32 v3, s6, v8
	v_mul_lo_u32 v4, s7, v7
	s_mov_b32 s0, 0x2302303
	v_mul_hi_u32 v1, v0, s0
	v_cmp_gt_u64_e64 s[0:1], s[10:11], v[7:8]
	v_add3_u32 v6, v4, v6, v3
	v_mov_b32_e32 v2, 0
	v_mul_u32_u24_e32 v1, 0x75, v1
	v_mov_b32_e32 v3, 0
	v_sub_u32_e32 v4, v0, v1
	v_lshlrev_b64 v[0:1], 3, v[5:6]
	v_mov_b32_e32 v25, v3
	v_mov_b32_e32 v24, v2
                                        ; implicit-def: $vgpr7
	s_and_saveexec_b64 s[4:5], s[0:1]
	s_cbranch_execz .LBB0_11
; %bb.10:
	v_mov_b32_e32 v5, 0
	v_mov_b32_e32 v2, s3
	v_add_co_u32_e32 v6, vcc, s2, v0
	v_addc_co_u32_e32 v7, vcc, v2, v1, vcc
	v_lshlrev_b64 v[2:3], 3, v[4:5]
	s_movk_i32 s6, 0x1000
	v_add_co_u32_e32 v2, vcc, v6, v2
	v_addc_co_u32_e32 v3, vcc, v7, v3, vcc
	v_add_co_u32_e32 v32, vcc, s6, v2
	v_addc_co_u32_e32 v33, vcc, 0, v3, vcc
	global_load_dwordx2 v[24:25], v[2:3], off
	global_load_dwordx2 v[26:27], v[2:3], off offset:936
	global_load_dwordx2 v[20:21], v[2:3], off offset:1872
	;; [unrolled: 1-line block ×7, first 2 shown]
	v_add_co_u32_e32 v2, vcc, 0x2000, v2
	v_addc_co_u32_e32 v3, vcc, 0, v3, vcc
	global_load_dwordx2 v[12:13], v[32:33], off offset:3392
	global_load_dwordx2 v[18:19], v[2:3], off offset:232
	;; [unrolled: 1-line block ×5, first 2 shown]
	v_mov_b32_e32 v2, v4
	v_mov_b32_e32 v3, v5
.LBB0_11:
	s_or_b64 exec, exec, s[4:5]
	s_waitcnt vmcnt(0)
	v_add_f32_e32 v32, v26, v30
	v_mul_f32_e32 v34, 0x3f62ad3f, v32
	v_mul_f32_e32 v36, 0x3f116cb1, v32
	;; [unrolled: 1-line block ×6, first 2 shown]
	v_sub_f32_e32 v33, v27, v31
	v_mov_b32_e32 v35, v34
	v_mov_b32_e32 v37, v36
	;; [unrolled: 1-line block ×6, first 2 shown]
	v_fmac_f32_e32 v35, 0x3eedf032, v33
	v_fmac_f32_e32 v34, 0xbeedf032, v33
	;; [unrolled: 1-line block ×12, first 2 shown]
	v_add_f32_e32 v5, v26, v24
	v_add_f32_e32 v35, v35, v24
	;; [unrolled: 1-line block ×14, first 2 shown]
	v_sub_f32_e32 v33, v21, v29
	v_mul_f32_e32 v45, 0x3f116cb1, v32
	v_mov_b32_e32 v46, v45
	v_fmac_f32_e32 v45, 0xbf52af12, v33
	v_fmac_f32_e32 v46, 0x3f52af12, v33
	v_add_f32_e32 v34, v45, v34
	v_mul_f32_e32 v45, 0xbeb58ec6, v32
	v_add_f32_e32 v35, v46, v35
	v_mov_b32_e32 v46, v45
	v_fmac_f32_e32 v45, 0xbf6f5d39, v33
	v_fmac_f32_e32 v46, 0x3f6f5d39, v33
	v_add_f32_e32 v36, v45, v36
	v_mul_f32_e32 v45, 0xbf788fa5, v32
	v_add_f32_e32 v37, v46, v37
	v_mov_b32_e32 v46, v45
	v_fmac_f32_e32 v45, 0xbe750f2a, v33
	v_fmac_f32_e32 v46, 0x3e750f2a, v33
	v_add_f32_e32 v38, v45, v38
	v_mul_f32_e32 v45, 0xbf3f9e67, v32
	v_add_f32_e32 v39, v46, v39
	v_mov_b32_e32 v46, v45
	v_fmac_f32_e32 v45, 0x3f29c268, v33
	v_fmac_f32_e32 v46, 0xbf29c268, v33
	v_add_f32_e32 v40, v45, v40
	v_mul_f32_e32 v45, 0x3df6dbef, v32
	v_add_f32_e32 v41, v46, v41
	v_mov_b32_e32 v46, v45
	v_fmac_f32_e32 v45, 0x3f7e222b, v33
	v_mul_f32_e32 v32, 0x3f62ad3f, v32
	v_add_f32_e32 v42, v45, v42
	v_mov_b32_e32 v45, v32
	v_fmac_f32_e32 v32, 0x3eedf032, v33
	v_fmac_f32_e32 v45, 0xbeedf032, v33
	v_add_f32_e32 v24, v32, v24
	v_add_f32_e32 v32, v16, v22
	v_fmac_f32_e32 v46, 0xbf7e222b, v33
	v_add_f32_e32 v44, v45, v44
	v_sub_f32_e32 v33, v17, v23
	v_mul_f32_e32 v45, 0x3df6dbef, v32
	v_add_f32_e32 v43, v46, v43
	v_mov_b32_e32 v46, v45
	v_fmac_f32_e32 v45, 0xbf7e222b, v33
	v_fmac_f32_e32 v46, 0x3f7e222b, v33
	v_add_f32_e32 v34, v45, v34
	v_mul_f32_e32 v45, 0xbf788fa5, v32
	v_add_f32_e32 v35, v46, v35
	v_mov_b32_e32 v46, v45
	v_fmac_f32_e32 v45, 0xbe750f2a, v33
	v_fmac_f32_e32 v46, 0x3e750f2a, v33
	v_add_f32_e32 v36, v45, v36
	v_mul_f32_e32 v45, 0xbeb58ec6, v32
	v_add_f32_e32 v37, v46, v37
	v_mov_b32_e32 v46, v45
	v_fmac_f32_e32 v45, 0x3f6f5d39, v33
	v_fmac_f32_e32 v46, 0xbf6f5d39, v33
	v_add_f32_e32 v38, v45, v38
	v_mul_f32_e32 v45, 0x3f62ad3f, v32
	v_add_f32_e32 v39, v46, v39
	v_mov_b32_e32 v46, v45
	v_fmac_f32_e32 v45, 0x3eedf032, v33
	v_fmac_f32_e32 v46, 0xbeedf032, v33
	v_add_f32_e32 v40, v45, v40
	v_mul_f32_e32 v45, 0x3f116cb1, v32
	v_add_f32_e32 v41, v46, v41
	v_mov_b32_e32 v46, v45
	v_fmac_f32_e32 v45, 0xbf52af12, v33
	v_mul_f32_e32 v32, 0xbf3f9e67, v32
	v_add_f32_e32 v42, v45, v42
	v_mov_b32_e32 v45, v32
	v_fmac_f32_e32 v32, 0xbf29c268, v33
	v_fmac_f32_e32 v45, 0x3f29c268, v33
	v_add_f32_e32 v24, v32, v24
	v_add_f32_e32 v32, v14, v18
	v_fmac_f32_e32 v46, 0x3f52af12, v33
	v_add_f32_e32 v44, v45, v44
	v_sub_f32_e32 v33, v15, v19
	v_mul_f32_e32 v45, 0xbeb58ec6, v32
	v_add_f32_e32 v43, v46, v43
	;; [unrolled: 38-line block ×4, first 2 shown]
	v_mov_b32_e32 v46, v45
	v_fmac_f32_e32 v45, 0xbe750f2a, v33
	v_add_f32_e32 v5, v20, v5
	v_fmac_f32_e32 v46, 0x3e750f2a, v33
	v_add_f32_e32 v45, v45, v34
	v_mul_f32_e32 v34, 0x3f62ad3f, v32
	v_add_f32_e32 v5, v16, v5
	v_add_f32_e32 v35, v46, v35
	v_mov_b32_e32 v46, v34
	v_fmac_f32_e32 v34, 0x3eedf032, v33
	v_add_f32_e32 v5, v14, v5
	v_fmac_f32_e32 v46, 0xbeedf032, v33
	v_add_f32_e32 v34, v34, v36
	v_mul_f32_e32 v36, 0xbf3f9e67, v32
	v_add_f32_e32 v5, v10, v5
	v_add_f32_e32 v37, v46, v37
	v_mov_b32_e32 v46, v36
	v_fmac_f32_e32 v36, 0xbf29c268, v33
	v_add_f32_e32 v5, v6, v5
	v_fmac_f32_e32 v46, 0x3f29c268, v33
	v_add_f32_e32 v36, v36, v38
	v_mul_f32_e32 v38, 0x3f116cb1, v32
	v_add_f32_e32 v5, v8, v5
	v_add_f32_e32 v39, v46, v39
	v_mov_b32_e32 v46, v38
	v_fmac_f32_e32 v38, 0x3f52af12, v33
	v_add_f32_e32 v5, v12, v5
	v_fmac_f32_e32 v46, 0xbf52af12, v33
	v_add_f32_e32 v38, v38, v40
	v_mul_f32_e32 v40, 0xbeb58ec6, v32
	v_add_f32_e32 v5, v18, v5
	v_add_f32_e32 v41, v46, v41
	v_mov_b32_e32 v46, v40
	v_fmac_f32_e32 v40, 0xbf6f5d39, v33
	v_mul_f32_e32 v32, 0x3df6dbef, v32
	v_add_f32_e32 v5, v22, v5
	v_add_f32_e32 v40, v40, v42
	v_mov_b32_e32 v42, v32
	v_fmac_f32_e32 v32, 0x3f7e222b, v33
	v_add_f32_e32 v5, v28, v5
	v_fmac_f32_e32 v42, 0xbf7e222b, v33
	v_add_f32_e32 v32, v32, v24
	v_mad_u32_u24 v24, v4, 52, 0
	s_movk_i32 s4, 0xffd0
	v_add_f32_e32 v5, v30, v5
	v_fmac_f32_e32 v46, 0x3f6f5d39, v33
	v_add_f32_e32 v42, v42, v44
	v_mad_i32_i24 v44, v4, s4, v24
	v_add_f32_e32 v43, v46, v43
	ds_write2_b32 v24, v5, v35 offset1:1
	ds_write2_b32 v24, v37, v39 offset0:2 offset1:3
	ds_write2_b32 v24, v41, v43 offset0:4 offset1:5
	;; [unrolled: 1-line block ×5, first 2 shown]
	ds_write_b32 v24, v45 offset:48
	v_add_u32_e32 v5, 0x600, v44
	v_add_u32_e32 v46, 0xe00, v44
	;; [unrolled: 1-line block ×5, first 2 shown]
	s_waitcnt lgkmcnt(0)
	s_barrier
	ds_read2_b32 v[34:35], v44 offset1:117
	ds_read2_b32 v[40:41], v5 offset0:123 offset1:240
	ds_read2_b32 v[42:43], v46 offset0:118 offset1:235
	;; [unrolled: 1-line block ×5, first 2 shown]
	s_mov_b32 s10, 0x3f62ad3f
	s_mov_b32 s7, 0x3f116cb1
	;; [unrolled: 1-line block ×6, first 2 shown]
	v_cmp_gt_u32_e32 vcc, 39, v4
                                        ; implicit-def: $vgpr49
                                        ; implicit-def: $vgpr50
	s_and_saveexec_b64 s[4:5], vcc
	s_cbranch_execz .LBB0_13
; %bb.12:
	ds_read_b32 v45, v44 offset:1872
	ds_read_b32 v50, v44 offset:3900
	;; [unrolled: 1-line block ×3, first 2 shown]
.LBB0_13:
	s_or_b64 exec, exec, s[4:5]
	v_add_f32_e32 v52, v27, v25
	v_add_f32_e32 v52, v21, v52
	;; [unrolled: 1-line block ×10, first 2 shown]
	v_sub_f32_e32 v26, v26, v30
	v_add_f32_e32 v52, v29, v52
	v_mul_f32_e32 v30, 0xbeedf032, v26
	v_mul_f32_e32 v53, 0xbf52af12, v26
	;; [unrolled: 1-line block ×6, first 2 shown]
	v_add_f32_e32 v52, v31, v52
	v_add_f32_e32 v27, v27, v31
	v_mov_b32_e32 v31, v30
	v_mov_b32_e32 v54, v53
	;; [unrolled: 1-line block ×6, first 2 shown]
	v_fmac_f32_e32 v31, 0x3f62ad3f, v27
	v_fma_f32 v30, v27, s10, -v30
	v_fmac_f32_e32 v54, 0x3f116cb1, v27
	v_fma_f32 v53, v27, s7, -v53
	;; [unrolled: 2-line block ×6, first 2 shown]
	v_sub_f32_e32 v20, v20, v28
	v_add_f32_e32 v31, v31, v25
	v_add_f32_e32 v30, v30, v25
	v_add_f32_e32 v54, v54, v25
	v_add_f32_e32 v53, v53, v25
	v_add_f32_e32 v56, v56, v25
	v_add_f32_e32 v55, v55, v25
	v_add_f32_e32 v58, v58, v25
	v_add_f32_e32 v57, v57, v25
	v_add_f32_e32 v60, v60, v25
	v_add_f32_e32 v59, v59, v25
	v_add_f32_e32 v61, v61, v25
	v_add_f32_e32 v25, v26, v25
	v_add_f32_e32 v21, v21, v29
	v_mul_f32_e32 v26, 0xbf52af12, v20
	v_mov_b32_e32 v27, v26
	v_fma_f32 v26, v21, s7, -v26
	v_mul_f32_e32 v28, 0xbf6f5d39, v20
	v_fmac_f32_e32 v27, 0x3f116cb1, v21
	v_add_f32_e32 v26, v26, v30
	v_mov_b32_e32 v29, v28
	v_fma_f32 v28, v21, s11, -v28
	v_mul_f32_e32 v30, 0xbe750f2a, v20
	v_add_f32_e32 v27, v27, v31
	v_fmac_f32_e32 v29, 0xbeb58ec6, v21
	v_add_f32_e32 v28, v28, v53
	v_mov_b32_e32 v31, v30
	v_fma_f32 v30, v21, s13, -v30
	v_mul_f32_e32 v53, 0x3f29c268, v20
	v_add_f32_e32 v29, v29, v54
	v_fmac_f32_e32 v31, 0xbf788fa5, v21
	v_add_f32_e32 v30, v30, v55
	v_mov_b32_e32 v54, v53
	v_fma_f32 v53, v21, s12, -v53
	v_mul_f32_e32 v55, 0x3f7e222b, v20
	v_mul_f32_e32 v20, 0x3eedf032, v20
	v_add_f32_e32 v31, v31, v56
	v_add_f32_e32 v53, v53, v57
	v_mov_b32_e32 v56, v55
	v_mov_b32_e32 v57, v20
	v_sub_f32_e32 v16, v16, v22
	v_fmac_f32_e32 v54, 0xbf3f9e67, v21
	v_fmac_f32_e32 v56, 0x3df6dbef, v21
	v_fma_f32 v55, v21, s6, -v55
	v_fmac_f32_e32 v57, 0x3f62ad3f, v21
	v_fma_f32 v20, v21, s10, -v20
	v_add_f32_e32 v17, v17, v23
	v_mul_f32_e32 v21, 0xbf7e222b, v16
	v_mov_b32_e32 v22, v21
	v_fma_f32 v21, v17, s6, -v21
	v_mul_f32_e32 v23, 0xbe750f2a, v16
	v_add_f32_e32 v20, v20, v25
	v_fmac_f32_e32 v22, 0x3df6dbef, v17
	v_add_f32_e32 v21, v21, v26
	v_mov_b32_e32 v25, v23
	v_fma_f32 v23, v17, s13, -v23
	v_mul_f32_e32 v26, 0x3f6f5d39, v16
	v_add_f32_e32 v22, v22, v27
	v_fmac_f32_e32 v25, 0xbf788fa5, v17
	v_add_f32_e32 v23, v23, v28
	;; [unrolled: 6-line block ×3, first 2 shown]
	v_mov_b32_e32 v29, v28
	v_fma_f32 v28, v17, s10, -v28
	v_mul_f32_e32 v30, 0xbf52af12, v16
	v_mul_f32_e32 v16, 0xbf29c268, v16
	v_add_f32_e32 v27, v27, v31
	v_add_f32_e32 v28, v28, v53
	v_mov_b32_e32 v31, v30
	v_mov_b32_e32 v53, v16
	v_sub_f32_e32 v14, v14, v18
	v_fmac_f32_e32 v29, 0x3f62ad3f, v17
	v_fmac_f32_e32 v31, 0x3f116cb1, v17
	v_fma_f32 v30, v17, s7, -v30
	v_fmac_f32_e32 v53, 0xbf3f9e67, v17
	v_fma_f32 v16, v17, s12, -v16
	v_add_f32_e32 v15, v15, v19
	v_mul_f32_e32 v17, 0xbf6f5d39, v14
	v_mov_b32_e32 v18, v17
	v_fma_f32 v17, v15, s11, -v17
	v_mul_f32_e32 v19, 0x3f29c268, v14
	v_add_f32_e32 v16, v16, v20
	v_fmac_f32_e32 v18, 0xbeb58ec6, v15
	v_add_f32_e32 v17, v17, v21
	v_mov_b32_e32 v20, v19
	v_fma_f32 v19, v15, s12, -v19
	v_mul_f32_e32 v21, 0x3eedf032, v14
	v_add_f32_e32 v18, v18, v22
	v_fmac_f32_e32 v20, 0xbf3f9e67, v15
	v_add_f32_e32 v19, v19, v23
	;; [unrolled: 6-line block ×3, first 2 shown]
	v_mov_b32_e32 v25, v23
	v_fma_f32 v23, v15, s6, -v23
	v_mul_f32_e32 v26, 0x3e750f2a, v14
	v_mul_f32_e32 v14, 0x3f52af12, v14
	v_sub_f32_e32 v10, v10, v12
	v_add_f32_e32 v22, v22, v27
	v_add_f32_e32 v23, v23, v28
	v_mov_b32_e32 v27, v26
	v_mov_b32_e32 v28, v14
	v_add_f32_e32 v11, v11, v13
	v_mul_f32_e32 v12, 0xbf29c268, v10
	v_fmac_f32_e32 v25, 0x3df6dbef, v15
	v_fmac_f32_e32 v27, 0xbf788fa5, v15
	v_fma_f32 v26, v15, s13, -v26
	v_fmac_f32_e32 v28, 0x3f116cb1, v15
	v_fma_f32 v14, v15, s7, -v14
	v_mov_b32_e32 v13, v12
	v_fma_f32 v12, v11, s12, -v12
	v_mul_f32_e32 v15, 0x3f7e222b, v10
	v_add_f32_e32 v14, v14, v16
	v_fmac_f32_e32 v13, 0xbf3f9e67, v11
	v_add_f32_e32 v12, v12, v17
	v_mov_b32_e32 v16, v15
	v_fma_f32 v15, v11, s6, -v15
	v_mul_f32_e32 v17, 0xbf52af12, v10
	v_sub_f32_e32 v6, v6, v8
	v_add_f32_e32 v54, v54, v58
	v_add_f32_e32 v13, v13, v18
	v_fmac_f32_e32 v16, 0x3df6dbef, v11
	v_add_f32_e32 v15, v15, v19
	v_mov_b32_e32 v18, v17
	v_fma_f32 v17, v11, s7, -v17
	v_mul_f32_e32 v19, 0x3e750f2a, v10
	v_add_f32_e32 v7, v7, v9
	v_mul_f32_e32 v8, 0xbe750f2a, v6
	v_add_f32_e32 v29, v29, v54
	v_add_f32_e32 v16, v16, v20
	v_fmac_f32_e32 v18, 0x3f116cb1, v11
	v_add_f32_e32 v17, v17, v21
	v_mov_b32_e32 v20, v19
	v_fma_f32 v19, v11, s13, -v19
	v_mul_f32_e32 v21, 0x3eedf032, v10
	v_mul_f32_e32 v10, 0xbf6f5d39, v10
	v_mov_b32_e32 v9, v8
	v_fma_f32 v8, v7, s13, -v8
	v_add_f32_e32 v25, v25, v29
	v_add_f32_e32 v18, v18, v22
	;; [unrolled: 1-line block ×3, first 2 shown]
	v_mov_b32_e32 v22, v21
	v_mov_b32_e32 v23, v10
	v_add_f32_e32 v29, v8, v12
	v_mul_f32_e32 v8, 0x3eedf032, v6
	v_add_f32_e32 v55, v55, v59
	v_fmac_f32_e32 v20, 0xbf788fa5, v11
	v_fmac_f32_e32 v22, 0x3f62ad3f, v11
	v_fma_f32 v21, v11, s10, -v21
	v_fmac_f32_e32 v23, 0xbeb58ec6, v11
	v_fma_f32 v10, v11, s11, -v10
	v_fmac_f32_e32 v9, 0xbf788fa5, v7
	v_mov_b32_e32 v11, v8
	v_mul_f32_e32 v12, 0xbf29c268, v6
	v_add_f32_e32 v56, v56, v60
	v_add_f32_e32 v57, v57, v61
	v_add_f32_e32 v30, v30, v55
	v_add_f32_e32 v10, v10, v14
	v_add_f32_e32 v9, v9, v13
	v_fmac_f32_e32 v11, 0x3f62ad3f, v7
	v_fma_f32 v8, v7, s10, -v8
	v_mov_b32_e32 v13, v12
	v_mul_f32_e32 v14, 0x3f52af12, v6
	v_add_f32_e32 v31, v31, v56
	v_add_f32_e32 v53, v53, v57
	;; [unrolled: 1-line block ×5, first 2 shown]
	v_fmac_f32_e32 v13, 0xbf3f9e67, v7
	v_fma_f32 v12, v7, s12, -v12
	v_mov_b32_e32 v15, v14
	v_mul_f32_e32 v16, 0xbf6f5d39, v6
	v_mul_f32_e32 v6, 0x3f7e222b, v6
	v_add_f32_e32 v27, v27, v31
	v_add_f32_e32 v28, v28, v53
	;; [unrolled: 1-line block ×6, first 2 shown]
	v_fmac_f32_e32 v15, 0x3f116cb1, v7
	v_fma_f32 v14, v7, s7, -v14
	v_mov_b32_e32 v17, v16
	v_fma_f32 v16, v7, s11, -v16
	v_mov_b32_e32 v18, v6
	v_fma_f32 v6, v7, s6, -v6
	v_add_f32_e32 v22, v22, v27
	v_add_f32_e32 v23, v23, v28
	;; [unrolled: 1-line block ×4, first 2 shown]
	v_fmac_f32_e32 v17, 0xbeb58ec6, v7
	v_add_f32_e32 v16, v16, v21
	v_fmac_f32_e32 v18, 0x3df6dbef, v7
	v_add_f32_e32 v6, v6, v10
	v_add_f32_e32 v17, v17, v22
	;; [unrolled: 1-line block ×3, first 2 shown]
	s_waitcnt lgkmcnt(0)
	s_barrier
	ds_write2_b32 v24, v52, v9 offset1:1
	ds_write2_b32 v24, v11, v13 offset0:2 offset1:3
	ds_write2_b32 v24, v15, v17 offset0:4 offset1:5
	;; [unrolled: 1-line block ×5, first 2 shown]
	ds_write_b32 v24, v29 offset:48
	s_waitcnt lgkmcnt(0)
	s_barrier
	ds_read2_b32 v[11:12], v44 offset1:117
	ds_read2_b32 v[15:16], v5 offset0:123 offset1:240
	ds_read2_b32 v[13:14], v46 offset0:118 offset1:235
	;; [unrolled: 1-line block ×5, first 2 shown]
                                        ; implicit-def: $vgpr17
                                        ; implicit-def: $vgpr18
	s_and_saveexec_b64 s[4:5], vcc
	s_cbranch_execz .LBB0_15
; %bb.14:
	ds_read_b32 v29, v44 offset:1872
	ds_read_b32 v18, v44 offset:3900
	;; [unrolled: 1-line block ×3, first 2 shown]
.LBB0_15:
	s_or_b64 exec, exec, s[4:5]
	s_movk_i32 s4, 0x4f
	v_add_u16_e32 v46, 0x75, v4
	v_mul_lo_u16_sdwa v19, v4, s4 dst_sel:DWORD dst_unused:UNUSED_PAD src0_sel:BYTE_0 src1_sel:DWORD
	v_mul_lo_u16_sdwa v23, v46, s4 dst_sel:DWORD dst_unused:UNUSED_PAD src0_sel:BYTE_0 src1_sel:DWORD
	v_lshrrev_b16_e32 v19, 10, v19
	v_lshrrev_b16_e32 v30, 10, v23
	v_mul_lo_u16_e32 v20, 13, v19
	v_mul_lo_u16_e32 v23, 13, v30
	v_sub_u16_e32 v20, v4, v20
	v_mov_b32_e32 v21, 4
	v_sub_u16_e32 v74, v46, v23
	v_add_u32_e32 v48, 0xea, v4
	v_lshlrev_b32_sdwa v22, v21, v20 dst_sel:DWORD dst_unused:UNUSED_PAD src0_sel:DWORD src1_sel:BYTE_0
	v_lshlrev_b32_sdwa v21, v21, v74 dst_sel:DWORD dst_unused:UNUSED_PAD src0_sel:DWORD src1_sel:BYTE_0
	s_movk_i32 s4, 0x4ec5
	v_add_u32_e32 v47, 0x15f, v4
	global_load_dwordx4 v[54:57], v22, s[8:9]
	global_load_dwordx4 v[58:61], v21, s[8:9]
	v_mul_u32_u24_sdwa v21, v48, s4 dst_sel:DWORD dst_unused:UNUSED_PAD src0_sel:WORD_0 src1_sel:DWORD
	v_lshrrev_b32_e32 v75, 18, v21
	v_mul_u32_u24_sdwa v22, v47, s4 dst_sel:DWORD dst_unused:UNUSED_PAD src0_sel:WORD_0 src1_sel:DWORD
	v_mul_lo_u16_e32 v21, 13, v75
	v_lshrrev_b32_e32 v77, 18, v22
	v_sub_u16_e32 v76, v48, v21
	v_mul_lo_u16_e32 v22, 13, v77
	v_lshlrev_b32_e32 v21, 4, v76
	v_sub_u16_e32 v78, v47, v22
	v_add_u32_e32 v31, 0x1d4, v4
	global_load_dwordx4 v[62:65], v21, s[8:9]
	v_lshlrev_b32_e32 v21, 4, v78
	global_load_dwordx4 v[66:69], v21, s[8:9]
	v_mul_u32_u24_sdwa v21, v31, s4 dst_sel:DWORD dst_unused:UNUSED_PAD src0_sel:WORD_0 src1_sel:DWORD
	v_lshrrev_b32_e32 v79, 18, v21
	v_mul_lo_u16_e32 v21, 13, v79
	v_sub_u16_e32 v80, v31, v21
	v_lshlrev_b32_e32 v21, 4, v80
	global_load_dwordx4 v[70:73], v21, s[8:9]
	s_waitcnt vmcnt(0) lgkmcnt(0)
	s_barrier
	v_mul_f32_e32 v53, v15, v55
	v_mul_f32_e32 v28, v40, v55
	;; [unrolled: 1-line block ×8, first 2 shown]
	v_fma_f32 v53, v40, v54, -v53
	v_fmac_f32_e32 v28, v15, v54
	v_fma_f32 v54, v42, v56, -v55
	v_fma_f32 v42, v41, v58, -v57
	;; [unrolled: 1-line block ×3, first 2 shown]
	v_fmac_f32_e32 v51, v13, v56
	v_mul_f32_e32 v21, v37, v67
	v_add_f32_e32 v13, v42, v43
	v_mul_f32_e32 v61, v7, v63
	v_mul_f32_e32 v23, v36, v63
	;; [unrolled: 1-line block ×5, first 2 shown]
	v_fmac_f32_e32 v25, v16, v58
	v_fmac_f32_e32 v27, v14, v60
	;; [unrolled: 1-line block ×3, first 2 shown]
	v_add_f32_e32 v8, v35, v42
	v_fmac_f32_e32 v35, -0.5, v13
	v_fma_f32 v40, v36, v62, -v61
	v_fma_f32 v41, v38, v64, -v63
	v_sub_f32_e32 v14, v25, v27
	v_mov_b32_e32 v15, v35
	v_mul_f32_e32 v67, v6, v69
	v_fmac_f32_e32 v15, 0x3f5db3d7, v14
	v_fmac_f32_e32 v35, 0xbf5db3d7, v14
	v_add_f32_e32 v14, v40, v41
	v_mul_f32_e32 v22, v39, v69
	v_mul_f32_e32 v26, v50, v71
	;; [unrolled: 1-line block ×3, first 2 shown]
	v_fmac_f32_e32 v23, v7, v62
	v_fmac_f32_e32 v24, v5, v64
	v_fma_f32 v38, v37, v66, -v65
	v_fma_f32 v39, v39, v68, -v67
	v_fma_f32 v14, -0.5, v14, v32
	v_mul_f32_e32 v69, v18, v71
	v_mul_f32_e32 v71, v17, v73
	v_fmac_f32_e32 v26, v18, v70
	v_fmac_f32_e32 v52, v17, v72
	v_sub_f32_e32 v16, v23, v24
	v_mov_b32_e32 v17, v14
	v_add_f32_e32 v18, v38, v39
	v_fmac_f32_e32 v22, v6, v68
	v_add_f32_e32 v6, v53, v54
	v_fmac_f32_e32 v17, 0x3f5db3d7, v16
	v_fmac_f32_e32 v14, 0xbf5db3d7, v16
	v_add_f32_e32 v16, v33, v38
	v_fmac_f32_e32 v33, -0.5, v18
	v_fma_f32 v36, v50, v70, -v69
	v_fma_f32 v6, -0.5, v6, v34
	v_sub_f32_e32 v18, v21, v22
	v_mov_b32_e32 v55, v33
	v_fma_f32 v37, v49, v72, -v71
	v_sub_f32_e32 v7, v28, v51
	v_mov_b32_e32 v13, v6
	v_fmac_f32_e32 v55, 0x3f5db3d7, v18
	v_fmac_f32_e32 v33, 0xbf5db3d7, v18
	v_add_f32_e32 v18, v45, v36
	v_fmac_f32_e32 v6, 0xbf5db3d7, v7
	v_fmac_f32_e32 v13, 0x3f5db3d7, v7
	v_add_f32_e32 v7, v32, v40
	v_add_f32_e32 v32, v18, v37
	v_add_f32_e32 v18, v36, v37
	v_fmac_f32_e32 v45, -0.5, v18
	v_add_f32_e32 v5, v34, v53
	v_sub_f32_e32 v18, v26, v52
	v_mov_b32_e32 v34, v45
	v_fmac_f32_e32 v34, 0x3f5db3d7, v18
	v_fmac_f32_e32 v45, 0xbf5db3d7, v18
	v_mul_u32_u24_e32 v18, 0x9c, v19
	v_mov_b32_e32 v19, 2
	v_lshlrev_b32_sdwa v20, v19, v20 dst_sel:DWORD dst_unused:UNUSED_PAD src0_sel:DWORD src1_sel:BYTE_0
	v_add_f32_e32 v5, v5, v54
	v_add3_u32 v49, 0, v18, v20
	ds_write2_b32 v49, v5, v13 offset1:13
	ds_write_b32 v49, v6 offset:104
	v_mul_u32_u24_e32 v5, 0x9c, v30
	v_lshlrev_b32_sdwa v6, v19, v74 dst_sel:DWORD dst_unused:UNUSED_PAD src0_sel:DWORD src1_sel:BYTE_0
	v_add3_u32 v50, 0, v5, v6
	v_mul_u32_u24_e32 v5, 0x9c, v75
	v_lshlrev_b32_e32 v6, 2, v76
	v_add3_u32 v57, 0, v5, v6
	v_mul_u32_u24_e32 v5, 0x9c, v77
	v_lshlrev_b32_e32 v6, 2, v78
	v_add_f32_e32 v8, v8, v43
	v_add_f32_e32 v7, v7, v41
	;; [unrolled: 1-line block ×3, first 2 shown]
	v_add3_u32 v58, 0, v5, v6
	ds_write2_b32 v50, v8, v15 offset1:13
	ds_write_b32 v50, v35 offset:104
	ds_write2_b32 v57, v7, v17 offset1:13
	ds_write_b32 v57, v14 offset:104
	;; [unrolled: 2-line block ×3, first 2 shown]
	v_mul_lo_u16_e32 v55, 39, v79
	v_lshlrev_b32_e32 v56, 2, v80
	s_and_saveexec_b64 s[4:5], vcc
	s_cbranch_execz .LBB0_17
; %bb.16:
	v_lshlrev_b32_e32 v5, 2, v55
	v_add3_u32 v5, 0, v56, v5
	ds_write2_b32 v5, v32, v34 offset1:13
	ds_write_b32 v5, v45 offset:104
.LBB0_17:
	s_or_b64 exec, exec, s[4:5]
	v_add_u32_e32 v5, 0x600, v44
	s_waitcnt lgkmcnt(0)
	s_barrier
	ds_read2_b32 v[13:14], v5 offset0:123 offset1:240
	v_add_u32_e32 v5, 0xe00, v44
	ds_read2_b32 v[15:16], v5 offset0:118 offset1:235
	v_add_u32_e32 v5, 0x200, v44
	v_add_u32_e32 v17, 0xa00, v44
	;; [unrolled: 1-line block ×3, first 2 shown]
	ds_read2_b32 v[7:8], v44 offset1:117
	ds_read2_b32 v[5:6], v5 offset0:106 offset1:223
	ds_read2_b32 v[17:18], v17 offset0:101 offset1:218
	;; [unrolled: 1-line block ×3, first 2 shown]
	v_lshl_add_u32 v30, v4, 2, 0
	s_and_saveexec_b64 s[4:5], vcc
	s_cbranch_execz .LBB0_19
; %bb.18:
	ds_read_b32 v34, v44 offset:3900
	ds_read_b32 v32, v30 offset:1872
	;; [unrolled: 1-line block ×3, first 2 shown]
.LBB0_19:
	s_or_b64 exec, exec, s[4:5]
	v_add_f32_e32 v33, v11, v28
	v_add_f32_e32 v28, v28, v51
	v_fma_f32 v11, -0.5, v28, v11
	v_add_f32_e32 v59, v33, v51
	v_sub_f32_e32 v28, v53, v54
	v_mov_b32_e32 v51, v11
	v_fmac_f32_e32 v51, 0xbf5db3d7, v28
	v_fmac_f32_e32 v11, 0x3f5db3d7, v28
	v_add_f32_e32 v28, v12, v25
	v_add_f32_e32 v25, v25, v27
	v_fmac_f32_e32 v12, -0.5, v25
	v_add_f32_e32 v28, v28, v27
	v_sub_f32_e32 v25, v42, v43
	v_mov_b32_e32 v27, v12
	v_fmac_f32_e32 v27, 0xbf5db3d7, v25
	v_fmac_f32_e32 v12, 0x3f5db3d7, v25
	v_add_f32_e32 v25, v9, v23
	v_add_f32_e32 v23, v23, v24
	v_fma_f32 v9, -0.5, v23, v9
	v_add_f32_e32 v25, v25, v24
	v_sub_f32_e32 v23, v40, v41
	v_mov_b32_e32 v24, v9
	v_fmac_f32_e32 v24, 0xbf5db3d7, v23
	v_fmac_f32_e32 v9, 0x3f5db3d7, v23
	v_add_f32_e32 v23, v10, v21
	v_add_f32_e32 v21, v21, v22
	v_fmac_f32_e32 v10, -0.5, v21
	v_add_f32_e32 v23, v23, v22
	v_sub_f32_e32 v21, v38, v39
	v_mov_b32_e32 v22, v10
	v_fmac_f32_e32 v22, 0xbf5db3d7, v21
	v_fmac_f32_e32 v10, 0x3f5db3d7, v21
	v_add_f32_e32 v21, v29, v26
	v_add_f32_e32 v33, v21, v52
	;; [unrolled: 1-line block ×3, first 2 shown]
	v_fmac_f32_e32 v29, -0.5, v21
	v_sub_f32_e32 v21, v36, v37
	v_mov_b32_e32 v35, v29
	v_fmac_f32_e32 v35, 0xbf5db3d7, v21
	v_fmac_f32_e32 v29, 0x3f5db3d7, v21
	s_waitcnt lgkmcnt(0)
	s_barrier
	ds_write2_b32 v49, v59, v51 offset1:13
	ds_write_b32 v49, v11 offset:104
	ds_write2_b32 v50, v28, v27 offset1:13
	ds_write_b32 v50, v12 offset:104
	;; [unrolled: 2-line block ×4, first 2 shown]
	s_and_saveexec_b64 s[4:5], vcc
	s_cbranch_execz .LBB0_21
; %bb.20:
	v_lshlrev_b32_e32 v9, 2, v55
	v_add3_u32 v9, 0, v56, v9
	ds_write2_b32 v9, v33, v35 offset1:13
	ds_write_b32 v9, v29 offset:104
.LBB0_21:
	s_or_b64 exec, exec, s[4:5]
	v_add_u32_e32 v11, 0x600, v44
	s_waitcnt lgkmcnt(0)
	s_barrier
	ds_read2_b32 v[21:22], v11 offset0:123 offset1:240
	v_add_u32_e32 v11, 0xe00, v44
	ds_read2_b32 v[23:24], v11 offset0:118 offset1:235
	v_add_u32_e32 v11, 0x200, v44
	v_add_u32_e32 v25, 0xa00, v44
	;; [unrolled: 1-line block ×3, first 2 shown]
	ds_read2_b32 v[9:10], v44 offset1:117
	ds_read2_b32 v[11:12], v11 offset0:106 offset1:223
	ds_read2_b32 v[25:26], v25 offset0:101 offset1:218
	;; [unrolled: 1-line block ×3, first 2 shown]
	s_and_saveexec_b64 s[4:5], vcc
	s_cbranch_execz .LBB0_23
; %bb.22:
	ds_read_b32 v35, v44 offset:3900
	ds_read_b32 v33, v30 offset:1872
	ds_read_b32 v29, v44 offset:5928
.LBB0_23:
	s_or_b64 exec, exec, s[4:5]
	s_mov_b32 s5, 0xa41b
	v_mul_u32_u24_sdwa v38, v48, s5 dst_sel:DWORD dst_unused:UNUSED_PAD src0_sel:WORD_0 src1_sel:DWORD
	v_sub_u16_sdwa v39, v48, v38 dst_sel:DWORD dst_unused:UNUSED_PAD src0_sel:DWORD src1_sel:WORD_1
	v_lshrrev_b16_e32 v39, 1, v39
	v_add_u16_sdwa v38, v39, v38 dst_sel:DWORD dst_unused:UNUSED_PAD src0_sel:DWORD src1_sel:WORD_1
	v_mul_u32_u24_sdwa v39, v47, s5 dst_sel:DWORD dst_unused:UNUSED_PAD src0_sel:WORD_0 src1_sel:DWORD
	v_sub_u16_sdwa v40, v47, v39 dst_sel:DWORD dst_unused:UNUSED_PAD src0_sel:DWORD src1_sel:WORD_1
	v_lshrrev_b16_e32 v40, 1, v40
	v_lshrrev_b16_e32 v42, 5, v38
	v_add_u16_sdwa v39, v40, v39 dst_sel:DWORD dst_unused:UNUSED_PAD src0_sel:DWORD src1_sel:WORD_1
	v_mul_lo_u16_e32 v38, 39, v42
	v_lshrrev_b16_e32 v67, 5, v39
	v_sub_u16_e32 v43, v48, v38
	v_mul_lo_u16_e32 v39, 39, v67
	v_lshlrev_b32_e32 v38, 4, v43
	v_sub_u16_e32 v68, v47, v39
	v_lshlrev_b32_e32 v39, 4, v68
	global_load_dwordx4 v[47:50], v38, s[8:9] offset:208
	global_load_dwordx4 v[51:54], v39, s[8:9] offset:208
	v_mul_u32_u24_sdwa v38, v31, s5 dst_sel:DWORD dst_unused:UNUSED_PAD src0_sel:WORD_0 src1_sel:DWORD
	v_sub_u16_sdwa v39, v31, v38 dst_sel:DWORD dst_unused:UNUSED_PAD src0_sel:DWORD src1_sel:WORD_1
	v_lshrrev_b16_e32 v39, 1, v39
	v_add_u16_sdwa v38, v39, v38 dst_sel:DWORD dst_unused:UNUSED_PAD src0_sel:DWORD src1_sel:WORD_1
	s_movk_i32 s4, 0xa5
	v_lshrrev_b16_e32 v38, 5, v38
	v_mul_lo_u16_sdwa v36, v4, s4 dst_sel:DWORD dst_unused:UNUSED_PAD src0_sel:BYTE_0 src1_sel:DWORD
	v_mul_lo_u16_e32 v38, 39, v38
	v_sub_u16_sdwa v37, v4, v36 dst_sel:DWORD dst_unused:UNUSED_PAD src0_sel:DWORD src1_sel:BYTE_1
	v_sub_u16_e32 v69, v31, v38
	v_lshrrev_b16_e32 v37, 1, v37
	v_lshlrev_b32_e32 v31, 4, v69
	global_load_dwordx4 v[55:58], v31, s[8:9] offset:208
	v_and_b32_e32 v31, 0x7f, v37
	v_mul_lo_u16_sdwa v37, v46, s4 dst_sel:DWORD dst_unused:UNUSED_PAD src0_sel:BYTE_0 src1_sel:DWORD
	v_add_u16_sdwa v31, v31, v36 dst_sel:DWORD dst_unused:UNUSED_PAD src0_sel:DWORD src1_sel:BYTE_1
	v_sub_u16_sdwa v38, v46, v37 dst_sel:DWORD dst_unused:UNUSED_PAD src0_sel:DWORD src1_sel:BYTE_1
	v_lshrrev_b16_e32 v31, 5, v31
	v_lshrrev_b16_e32 v38, 1, v38
	v_and_b32_e32 v70, 7, v31
	v_and_b32_e32 v38, 0x7f, v38
	v_mul_lo_u16_e32 v31, 39, v70
	v_add_u16_sdwa v37, v38, v37 dst_sel:DWORD dst_unused:UNUSED_PAD src0_sel:DWORD src1_sel:BYTE_1
	v_sub_u16_e32 v71, v4, v31
	v_mov_b32_e32 v31, 4
	v_lshrrev_b16_e32 v37, 5, v37
	v_lshlrev_b32_sdwa v36, v31, v71 dst_sel:DWORD dst_unused:UNUSED_PAD src0_sel:DWORD src1_sel:BYTE_0
	v_and_b32_e32 v72, 7, v37
	global_load_dwordx4 v[59:62], v36, s[8:9] offset:208
	v_mul_lo_u16_e32 v36, 39, v72
	v_sub_u16_e32 v46, v46, v36
	v_lshlrev_b32_sdwa v31, v31, v46 dst_sel:DWORD dst_unused:UNUSED_PAD src0_sel:DWORD src1_sel:BYTE_0
	global_load_dwordx4 v[63:66], v31, s[8:9] offset:208
	s_movk_i32 s4, 0x1d4
	s_waitcnt vmcnt(0) lgkmcnt(0)
	s_barrier
	v_mul_f32_e32 v41, v25, v48
	v_mul_f32_e32 v39, v17, v48
	;; [unrolled: 1-line block ×8, first 2 shown]
	v_fmac_f32_e32 v39, v25, v47
	v_fmac_f32_e32 v38, v28, v53
	v_fma_f32 v41, v17, v47, -v41
	v_fmac_f32_e32 v36, v26, v51
	v_fmac_f32_e32 v40, v27, v49
	v_fma_f32 v17, v18, v51, -v50
	v_mul_f32_e32 v54, v35, v56
	v_mul_f32_e32 v31, v34, v56
	;; [unrolled: 1-line block ×3, first 2 shown]
	v_fma_f32 v25, v34, v55, -v54
	v_fmac_f32_e32 v31, v35, v55
	v_mul_f32_e32 v56, v29, v58
	v_fmac_f32_e32 v37, v29, v57
	v_fma_f32 v26, v45, v57, -v56
	v_fma_f32 v18, v20, v53, -v52
	;; [unrolled: 1-line block ×3, first 2 shown]
	v_mul_f32_e32 v34, v21, v60
	v_mul_f32_e32 v35, v23, v62
	;; [unrolled: 1-line block ×4, first 2 shown]
	v_fma_f32 v34, v13, v59, -v34
	v_fma_f32 v15, v15, v61, -v35
	v_mul_f32_e32 v45, v22, v64
	v_mul_f32_e32 v47, v24, v66
	v_fmac_f32_e32 v28, v21, v59
	v_add_f32_e32 v21, v34, v15
	v_mul_f32_e32 v20, v14, v64
	v_mul_f32_e32 v27, v16, v66
	v_fmac_f32_e32 v29, v23, v61
	v_fma_f32 v13, v14, v63, -v45
	v_fma_f32 v14, v16, v65, -v47
	v_add_f32_e32 v16, v7, v34
	v_fma_f32 v7, -0.5, v21, v7
	v_fmac_f32_e32 v20, v22, v63
	v_sub_f32_e32 v21, v28, v29
	v_mov_b32_e32 v22, v7
	v_add_f32_e32 v23, v13, v14
	v_fmac_f32_e32 v27, v24, v65
	v_fmac_f32_e32 v22, 0x3f5db3d7, v21
	;; [unrolled: 1-line block ×3, first 2 shown]
	v_add_f32_e32 v21, v8, v13
	v_fmac_f32_e32 v8, -0.5, v23
	v_sub_f32_e32 v23, v20, v27
	v_mov_b32_e32 v35, v8
	v_fmac_f32_e32 v35, 0x3f5db3d7, v23
	v_fmac_f32_e32 v8, 0xbf5db3d7, v23
	v_add_f32_e32 v23, v5, v41
	v_add_f32_e32 v45, v23, v19
	;; [unrolled: 1-line block ×3, first 2 shown]
	v_fma_f32 v5, -0.5, v23, v5
	v_sub_f32_e32 v23, v39, v40
	v_mov_b32_e32 v47, v5
	v_fmac_f32_e32 v47, 0x3f5db3d7, v23
	v_fmac_f32_e32 v5, 0xbf5db3d7, v23
	v_add_f32_e32 v23, v6, v17
	v_add_f32_e32 v48, v23, v18
	;; [unrolled: 1-line block ×3, first 2 shown]
	v_fmac_f32_e32 v6, -0.5, v23
	v_sub_f32_e32 v23, v36, v38
	v_mov_b32_e32 v49, v6
	v_mov_b32_e32 v24, 2
	v_fmac_f32_e32 v49, 0x3f5db3d7, v23
	v_fmac_f32_e32 v6, 0xbf5db3d7, v23
	v_mul_u32_u24_sdwa v23, v70, s4 dst_sel:DWORD dst_unused:UNUSED_PAD src0_sel:WORD_0 src1_sel:DWORD
	v_lshlrev_b32_sdwa v50, v24, v71 dst_sel:DWORD dst_unused:UNUSED_PAD src0_sel:DWORD src1_sel:BYTE_0
	v_add_f32_e32 v16, v16, v15
	v_add3_u32 v23, 0, v23, v50
	ds_write2_b32 v23, v16, v22 offset1:39
	ds_write_b32 v23, v7 offset:312
	v_mul_u32_u24_sdwa v7, v72, s4 dst_sel:DWORD dst_unused:UNUSED_PAD src0_sel:WORD_0 src1_sel:DWORD
	v_lshlrev_b32_sdwa v16, v24, v46 dst_sel:DWORD dst_unused:UNUSED_PAD src0_sel:DWORD src1_sel:BYTE_0
	v_add_f32_e32 v21, v21, v14
	v_add3_u32 v24, 0, v7, v16
	ds_write2_b32 v24, v21, v35 offset1:39
	ds_write_b32 v24, v8 offset:312
	v_mul_u32_u24_e32 v7, 0x1d4, v42
	v_lshlrev_b32_e32 v8, 2, v43
	v_add3_u32 v8, 0, v7, v8
	ds_write2_b32 v8, v45, v47 offset1:39
	ds_write_b32 v8, v5 offset:312
	v_mul_u32_u24_e32 v5, 0x1d4, v67
	v_lshlrev_b32_e32 v7, 2, v68
	v_add3_u32 v35, 0, v5, v7
	v_lshl_add_u32 v7, v69, 2, 0
	ds_write2_b32 v35, v48, v49 offset1:39
	ds_write_b32 v35, v6 offset:312
	s_and_saveexec_b64 s[4:5], vcc
	s_cbranch_execz .LBB0_25
; %bb.24:
	v_add_f32_e32 v5, v25, v26
	v_fma_f32 v5, -0.5, v5, v32
	v_sub_f32_e32 v6, v31, v37
	v_mov_b32_e32 v16, v5
	v_fmac_f32_e32 v16, 0xbf5db3d7, v6
	v_fmac_f32_e32 v5, 0x3f5db3d7, v6
	v_add_f32_e32 v6, v32, v25
	v_add_f32_e32 v6, v6, v26
	v_add_u32_e32 v21, 0x1400, v7
	ds_write2_b32 v21, v6, v5 offset0:124 offset1:163
	ds_write_b32 v7, v16 offset:5928
.LBB0_25:
	s_or_b64 exec, exec, s[4:5]
	v_add_f32_e32 v5, v9, v28
	v_add_f32_e32 v32, v5, v29
	;; [unrolled: 1-line block ×3, first 2 shown]
	v_fma_f32 v28, -0.5, v5, v9
	v_sub_f32_e32 v5, v34, v15
	v_mov_b32_e32 v29, v28
	v_fmac_f32_e32 v29, 0xbf5db3d7, v5
	v_fmac_f32_e32 v28, 0x3f5db3d7, v5
	v_add_f32_e32 v5, v10, v20
	v_add_f32_e32 v34, v5, v27
	;; [unrolled: 1-line block ×3, first 2 shown]
	v_fmac_f32_e32 v10, -0.5, v5
	v_sub_f32_e32 v5, v13, v14
	v_mov_b32_e32 v27, v10
	v_fmac_f32_e32 v27, 0xbf5db3d7, v5
	v_fmac_f32_e32 v10, 0x3f5db3d7, v5
	v_add_f32_e32 v5, v11, v39
	v_add_f32_e32 v42, v5, v40
	;; [unrolled: 1-line block ×3, first 2 shown]
	v_fma_f32 v11, -0.5, v5, v11
	v_sub_f32_e32 v5, v41, v19
	v_mov_b32_e32 v39, v11
	v_fmac_f32_e32 v39, 0xbf5db3d7, v5
	v_fmac_f32_e32 v11, 0x3f5db3d7, v5
	v_add_f32_e32 v5, v12, v36
	v_add_f32_e32 v40, v5, v38
	;; [unrolled: 1-line block ×3, first 2 shown]
	v_fmac_f32_e32 v12, -0.5, v5
	v_sub_f32_e32 v5, v17, v18
	v_mov_b32_e32 v36, v12
	v_add_u32_e32 v9, 0x200, v44
	v_add_u32_e32 v13, 0x800, v44
	;; [unrolled: 1-line block ×5, first 2 shown]
	v_fmac_f32_e32 v36, 0xbf5db3d7, v5
	v_fmac_f32_e32 v12, 0x3f5db3d7, v5
	s_waitcnt lgkmcnt(0)
	s_barrier
	ds_read2_b32 v[5:6], v44 offset1:117
	ds_read2_b32 v[17:18], v9 offset0:106 offset1:223
	ds_read_b32 v9, v30 offset:1872
	ds_read2_b32 v[13:14], v13 offset0:73 offset1:190
	ds_read2_b32 v[15:16], v15 offset0:51 offset1:168
	ds_read2_b32 v[19:20], v19 offset0:29 offset1:146
	ds_read2_b32 v[21:22], v21 offset0:7 offset1:124
	s_waitcnt lgkmcnt(0)
	s_barrier
	ds_write2_b32 v23, v32, v29 offset1:39
	ds_write_b32 v23, v28 offset:312
	ds_write2_b32 v24, v34, v27 offset1:39
	ds_write_b32 v24, v10 offset:312
	;; [unrolled: 2-line block ×4, first 2 shown]
	s_and_saveexec_b64 s[4:5], vcc
	s_cbranch_execz .LBB0_27
; %bb.26:
	v_add_f32_e32 v10, v31, v37
	v_add_f32_e32 v8, v33, v31
	v_fmac_f32_e32 v33, -0.5, v10
	v_sub_f32_e32 v10, v25, v26
	v_mov_b32_e32 v11, v33
	v_add_f32_e32 v8, v8, v37
	v_fmac_f32_e32 v11, 0xbf5db3d7, v10
	v_fmac_f32_e32 v33, 0x3f5db3d7, v10
	v_add_u32_e32 v10, 0x1400, v7
	ds_write2_b32 v10, v8, v11 offset0:124 offset1:163
	ds_write_b32 v7, v33 offset:5928
.LBB0_27:
	s_or_b64 exec, exec, s[4:5]
	s_waitcnt lgkmcnt(0)
	s_barrier
	s_and_saveexec_b64 s[4:5], s[0:1]
	s_cbranch_execz .LBB0_29
; %bb.28:
	v_mul_u32_u24_e32 v4, 12, v4
	v_lshlrev_b32_e32 v4, 3, v4
	global_load_dwordx4 v[23:26], v4, s[8:9] offset:832
	global_load_dwordx4 v[31:34], v4, s[8:9] offset:912
	global_load_dwordx4 v[35:38], v4, s[8:9] offset:848
	global_load_dwordx4 v[39:42], v4, s[8:9] offset:896
	global_load_dwordx4 v[45:48], v4, s[8:9] offset:864
	global_load_dwordx4 v[49:52], v4, s[8:9] offset:880
	ds_read2_b32 v[7:8], v44 offset1:117
	v_add_u32_e32 v4, 0x1400, v44
	v_add_u32_e32 v29, 0x1000, v44
	;; [unrolled: 1-line block ×5, first 2 shown]
	ds_read_b32 v55, v30 offset:1872
	ds_read2_b32 v[10:11], v4 offset0:7 offset1:124
	ds_read2_b32 v[27:28], v12 offset0:106 offset1:223
	;; [unrolled: 1-line block ×5, first 2 shown]
	s_mov_b32 s0, 0xbf788fa5
	s_mov_b32 s4, 0x3f62ad3f
	;; [unrolled: 1-line block ×6, first 2 shown]
	s_movk_i32 s8, 0x1000
	s_waitcnt vmcnt(5) lgkmcnt(6)
	v_mul_f32_e32 v4, v8, v24
	s_waitcnt vmcnt(4) lgkmcnt(4)
	v_mul_f32_e32 v12, v11, v34
	v_mul_f32_e32 v34, v22, v34
	;; [unrolled: 1-line block ×3, first 2 shown]
	s_waitcnt lgkmcnt(3)
	v_mul_f32_e32 v56, v27, v26
	v_mul_f32_e32 v57, v10, v32
	s_waitcnt vmcnt(3)
	v_mul_f32_e32 v58, v28, v36
	v_fma_f32 v22, v22, v33, -v12
	v_fma_f32 v4, v6, v23, -v4
	v_mul_f32_e32 v32, v21, v32
	v_mul_f32_e32 v26, v17, v26
	;; [unrolled: 1-line block ×3, first 2 shown]
	s_waitcnt vmcnt(2) lgkmcnt(2)
	v_mul_f32_e32 v61, v29, v40
	v_mul_f32_e32 v40, v19, v40
	s_waitcnt vmcnt(0) lgkmcnt(0)
	v_mul_f32_e32 v63, v54, v52
	v_mul_f32_e32 v52, v16, v52
	v_fma_f32 v21, v21, v31, -v57
	v_fmac_f32_e32 v24, v23, v8
	v_fma_f32 v6, v17, v25, -v56
	v_fma_f32 v23, v18, v35, -v58
	v_sub_f32_e32 v18, v4, v22
	v_fmac_f32_e32 v34, v33, v11
	v_fmac_f32_e32 v26, v25, v27
	v_fma_f32 v27, v19, v39, -v61
	v_fmac_f32_e32 v40, v39, v29
	v_fma_f32 v29, v16, v51, -v63
	v_fmac_f32_e32 v52, v51, v54
	v_sub_f32_e32 v19, v6, v21
	v_mul_f32_e32 v51, 0xbe750f2a, v18
	v_mul_f32_e32 v60, v55, v38
	v_fmac_f32_e32 v32, v31, v10
	v_add_f32_e32 v33, v24, v34
	v_mul_f32_e32 v54, 0x3eedf032, v19
	v_mov_b32_e32 v8, v51
	v_mul_f32_e32 v59, v30, v42
	v_mul_f32_e32 v38, v9, v38
	v_fmac_f32_e32 v36, v35, v28
	v_fma_f32 v25, v9, v37, -v60
	v_add_f32_e32 v35, v26, v32
	v_mov_b32_e32 v9, v54
	v_fmac_f32_e32 v8, 0xbf788fa5, v33
	v_mul_f32_e32 v42, v20, v42
	v_fma_f32 v20, v20, v41, -v59
	v_fmac_f32_e32 v9, 0x3f62ad3f, v35
	v_add_f32_e32 v8, v7, v8
	v_mul_f32_e32 v64, v53, v50
	v_mul_f32_e32 v50, v15, v50
	v_sub_f32_e32 v31, v23, v20
	v_add_f32_e32 v8, v8, v9
	v_mul_f32_e32 v9, v44, v48
	v_mul_f32_e32 v48, v14, v48
	v_fmac_f32_e32 v42, v41, v30
	v_fmac_f32_e32 v38, v37, v55
	v_fma_f32 v30, v15, v49, -v64
	v_mul_f32_e32 v55, 0xbf29c268, v31
	v_fmac_f32_e32 v50, v49, v53
	v_fma_f32 v49, v14, v47, -v9
	v_fmac_f32_e32 v48, v47, v44
	v_sub_f32_e32 v47, v24, v34
	v_mul_f32_e32 v62, v43, v46
	v_add_f32_e32 v37, v36, v42
	v_mov_b32_e32 v10, v55
	v_add_f32_e32 v44, v4, v22
	v_mul_f32_e32 v53, 0xbe750f2a, v47
	v_sub_f32_e32 v59, v26, v32
	v_mul_f32_e32 v46, v13, v46
	v_fma_f32 v28, v13, v45, -v62
	v_fmac_f32_e32 v10, 0xbf3f9e67, v37
	v_fma_f32 v9, v44, s0, -v53
	v_add_f32_e32 v58, v6, v21
	v_mul_f32_e32 v60, 0x3eedf032, v59
	v_sub_f32_e32 v62, v36, v42
	v_fmac_f32_e32 v46, v45, v43
	v_sub_f32_e32 v39, v25, v27
	v_add_f32_e32 v8, v8, v10
	v_add_f32_e32 v9, v5, v9
	v_fma_f32 v10, v58, s4, -v60
	v_add_f32_e32 v61, v23, v20
	v_mul_f32_e32 v63, 0xbf29c268, v62
	v_sub_f32_e32 v65, v38, v40
	v_sub_f32_e32 v43, v28, v29
	v_mul_f32_e32 v56, 0x3f52af12, v39
	v_add_f32_e32 v9, v9, v10
	v_fma_f32 v10, v61, s1, -v63
	v_add_f32_e32 v64, v25, v27
	v_mul_f32_e32 v66, 0x3f52af12, v65
	v_sub_f32_e32 v68, v46, v52
	v_add_f32_e32 v41, v38, v40
	v_mul_f32_e32 v57, 0xbf6f5d39, v43
	v_mov_b32_e32 v11, v56
	v_add_f32_e32 v9, v9, v10
	v_fma_f32 v10, v64, s5, -v66
	v_add_f32_e32 v67, v28, v29
	v_mul_f32_e32 v69, 0xbf6f5d39, v68
	v_sub_f32_e32 v70, v49, v30
	v_add_f32_e32 v45, v46, v52
	v_mov_b32_e32 v12, v57
	v_fmac_f32_e32 v11, 0x3f116cb1, v41
	v_add_f32_e32 v9, v9, v10
	v_fma_f32 v10, v67, s6, -v69
	v_mul_f32_e32 v71, 0x3f7e222b, v70
	v_fmac_f32_e32 v12, 0xbeb58ec6, v45
	v_add_f32_e32 v8, v8, v11
	v_add_f32_e32 v10, v9, v10
	;; [unrolled: 1-line block ×3, first 2 shown]
	v_mov_b32_e32 v9, v71
	v_sub_f32_e32 v74, v48, v50
	v_add_f32_e32 v8, v8, v12
	v_fmac_f32_e32 v9, 0x3df6dbef, v72
	v_add_f32_e32 v73, v49, v30
	v_mul_f32_e32 v75, 0x3f7e222b, v74
	v_add_f32_e32 v9, v8, v9
	v_fma_f32 v8, v73, s7, -v75
	v_mul_f32_e32 v76, 0xbf29c268, v18
	v_add_f32_e32 v8, v10, v8
	v_mov_b32_e32 v10, v76
	v_mul_f32_e32 v77, 0x3f7e222b, v19
	v_fmac_f32_e32 v10, 0xbf3f9e67, v33
	v_mov_b32_e32 v11, v77
	v_add_f32_e32 v10, v7, v10
	v_fmac_f32_e32 v11, 0x3df6dbef, v35
	v_mul_f32_e32 v78, 0xbf52af12, v31
	v_add_f32_e32 v10, v10, v11
	v_mov_b32_e32 v11, v78
	v_fmac_f32_e32 v11, 0x3f116cb1, v37
	v_mul_f32_e32 v79, 0x3e750f2a, v39
	v_add_f32_e32 v10, v10, v11
	v_mov_b32_e32 v11, v79
	;; [unrolled: 4-line block ×3, first 2 shown]
	v_fmac_f32_e32 v11, 0x3f62ad3f, v45
	v_mul_f32_e32 v81, 0xbf29c268, v47
	v_add_f32_e32 v10, v10, v11
	v_fma_f32 v11, v44, s1, -v81
	v_mul_f32_e32 v82, 0x3f7e222b, v59
	v_add_f32_e32 v11, v5, v11
	v_fma_f32 v12, v58, s7, -v82
	;; [unrolled: 3-line block ×5, first 2 shown]
	v_mul_f32_e32 v86, 0xbf6f5d39, v70
	v_add_f32_e32 v12, v11, v12
	v_mov_b32_e32 v11, v86
	v_fmac_f32_e32 v11, 0xbeb58ec6, v72
	v_mul_f32_e32 v87, 0xbf6f5d39, v74
	v_add_f32_e32 v11, v10, v11
	v_fma_f32 v10, v73, s6, -v87
	v_mul_f32_e32 v88, 0xbf6f5d39, v18
	v_add_f32_e32 v10, v12, v10
	v_mov_b32_e32 v12, v88
	v_mul_f32_e32 v89, 0x3f29c268, v19
	v_fmac_f32_e32 v12, 0xbeb58ec6, v33
	v_mov_b32_e32 v13, v89
	v_add_f32_e32 v12, v7, v12
	v_fmac_f32_e32 v13, 0xbf3f9e67, v35
	v_mul_f32_e32 v90, 0x3eedf032, v31
	v_add_f32_e32 v12, v12, v13
	v_mov_b32_e32 v13, v90
	v_fmac_f32_e32 v13, 0x3f62ad3f, v37
	v_mul_f32_e32 v91, 0xbf7e222b, v39
	v_add_f32_e32 v12, v12, v13
	v_mov_b32_e32 v13, v91
	;; [unrolled: 4-line block ×3, first 2 shown]
	v_fmac_f32_e32 v13, 0xbf788fa5, v45
	v_mul_f32_e32 v93, 0xbf6f5d39, v47
	v_add_f32_e32 v12, v12, v13
	v_fma_f32 v13, v44, s6, -v93
	v_mul_f32_e32 v94, 0x3f29c268, v59
	v_add_f32_e32 v13, v5, v13
	v_fma_f32 v14, v58, s1, -v94
	;; [unrolled: 3-line block ×5, first 2 shown]
	v_mul_f32_e32 v98, 0x3f52af12, v70
	v_add_f32_e32 v14, v13, v14
	v_mov_b32_e32 v13, v98
	v_fmac_f32_e32 v13, 0x3f116cb1, v72
	v_mul_f32_e32 v99, 0x3f52af12, v74
	v_add_f32_e32 v13, v12, v13
	v_fma_f32 v12, v73, s5, -v99
	v_mul_f32_e32 v100, 0xbf7e222b, v18
	v_add_f32_e32 v12, v14, v12
	v_mov_b32_e32 v14, v100
	v_mul_f32_e32 v101, 0xbe750f2a, v19
	v_add_f32_e32 v4, v5, v4
	v_fmac_f32_e32 v14, 0x3df6dbef, v33
	v_mov_b32_e32 v15, v101
	v_add_f32_e32 v4, v4, v6
	v_add_f32_e32 v14, v7, v14
	v_fmac_f32_e32 v15, 0xbf788fa5, v35
	v_mul_f32_e32 v102, 0x3f6f5d39, v31
	v_add_f32_e32 v4, v4, v23
	v_add_f32_e32 v14, v14, v15
	v_mov_b32_e32 v15, v102
	v_add_f32_e32 v4, v4, v25
	v_fmac_f32_e32 v15, 0xbeb58ec6, v37
	v_mul_f32_e32 v103, 0x3eedf032, v39
	v_add_f32_e32 v4, v4, v28
	v_add_f32_e32 v14, v14, v15
	v_mov_b32_e32 v15, v103
	;; [unrolled: 6-line block ×3, first 2 shown]
	v_add_f32_e32 v4, v29, v4
	v_fmac_f32_e32 v15, 0x3f116cb1, v45
	v_mul_f32_e32 v105, 0xbf7e222b, v47
	v_add_f32_e32 v4, v27, v4
	v_add_f32_e32 v14, v14, v15
	v_fma_f32 v15, v44, s7, -v105
	v_mul_f32_e32 v106, 0xbe750f2a, v59
	v_add_f32_e32 v4, v20, v4
	v_add_f32_e32 v15, v5, v15
	v_fma_f32 v16, v58, s0, -v106
	;; [unrolled: 4-line block ×3, first 2 shown]
	v_mul_f32_e32 v108, 0x3eedf032, v65
	v_add_f32_e32 v20, v22, v4
	v_fma_f32 v4, v33, s0, -v51
	v_add_f32_e32 v15, v15, v16
	v_fma_f32 v16, v64, s4, -v108
	v_mul_f32_e32 v109, 0xbf52af12, v68
	v_add_f32_e32 v4, v7, v4
	v_fma_f32 v6, v35, s4, -v54
	v_add_f32_e32 v15, v15, v16
	v_fma_f32 v16, v67, s5, -v109
	v_mul_f32_e32 v110, 0xbf29c268, v70
	v_add_f32_e32 v4, v4, v6
	v_fma_f32 v6, v37, s1, -v55
	v_add_f32_e32 v16, v15, v16
	v_mov_b32_e32 v15, v110
	v_add_f32_e32 v4, v4, v6
	v_fma_f32 v6, v41, s5, -v56
	v_fmac_f32_e32 v15, 0xbf3f9e67, v72
	v_mul_f32_e32 v111, 0xbf29c268, v74
	v_add_f32_e32 v4, v4, v6
	v_fma_f32 v6, v45, s6, -v57
	v_fmac_f32_e32 v53, 0xbf788fa5, v44
	v_add_f32_e32 v15, v14, v15
	v_fma_f32 v14, v73, s1, -v111
	v_mul_f32_e32 v112, 0xbf52af12, v18
	v_add_f32_e32 v4, v4, v6
	v_add_f32_e32 v6, v5, v53
	v_fmac_f32_e32 v60, 0x3f62ad3f, v58
	v_add_f32_e32 v14, v16, v14
	v_mov_b32_e32 v16, v112
	v_mul_f32_e32 v113, 0xbf6f5d39, v19
	v_add_f32_e32 v24, v24, v7
	v_add_f32_e32 v6, v6, v60
	v_fmac_f32_e32 v63, 0xbf3f9e67, v61
	v_fmac_f32_e32 v16, 0x3f116cb1, v33
	v_mov_b32_e32 v17, v113
	v_add_f32_e32 v24, v24, v26
	v_add_f32_e32 v6, v6, v63
	v_fmac_f32_e32 v66, 0x3f116cb1, v64
	v_add_f32_e32 v16, v7, v16
	v_fmac_f32_e32 v17, 0xbeb58ec6, v35
	v_mul_f32_e32 v114, 0xbe750f2a, v31
	v_add_f32_e32 v24, v24, v36
	v_add_f32_e32 v6, v6, v66
	v_fmac_f32_e32 v69, 0xbeb58ec6, v67
	v_fma_f32 v22, v72, s7, -v71
	v_add_f32_e32 v16, v16, v17
	v_mov_b32_e32 v17, v114
	v_add_f32_e32 v24, v24, v38
	v_add_f32_e32 v6, v6, v69
	;; [unrolled: 1-line block ×3, first 2 shown]
	v_fmac_f32_e32 v75, 0x3df6dbef, v73
	v_fma_f32 v4, v33, s1, -v76
	v_fmac_f32_e32 v17, 0xbf788fa5, v37
	v_mul_f32_e32 v115, 0x3f29c268, v39
	v_add_f32_e32 v24, v24, v46
	v_add_f32_e32 v22, v6, v75
	v_add_f32_e32 v4, v7, v4
	v_fma_f32 v6, v35, s7, -v77
	v_add_f32_e32 v16, v16, v17
	v_mov_b32_e32 v17, v115
	v_add_f32_e32 v24, v24, v48
	v_add_f32_e32 v4, v4, v6
	v_fma_f32 v6, v37, s5, -v78
	v_fmac_f32_e32 v17, 0xbf3f9e67, v41
	v_mul_f32_e32 v116, 0x3f7e222b, v43
	v_add_f32_e32 v24, v24, v50
	v_add_f32_e32 v4, v4, v6
	v_fma_f32 v6, v41, s0, -v79
	v_add_f32_e32 v16, v16, v17
	v_mov_b32_e32 v17, v116
	v_add_f32_e32 v24, v52, v24
	v_add_f32_e32 v4, v4, v6
	v_fma_f32 v6, v45, s4, -v80
	v_fmac_f32_e32 v81, 0xbf3f9e67, v44
	v_fmac_f32_e32 v17, 0x3df6dbef, v45
	v_mul_f32_e32 v117, 0xbf52af12, v47
	v_add_f32_e32 v24, v40, v24
	v_add_f32_e32 v4, v4, v6
	;; [unrolled: 1-line block ×3, first 2 shown]
	v_fmac_f32_e32 v82, 0x3df6dbef, v58
	v_add_f32_e32 v16, v16, v17
	v_fma_f32 v17, v44, s5, -v117
	v_mul_f32_e32 v118, 0xbf6f5d39, v59
	v_add_f32_e32 v24, v42, v24
	v_add_f32_e32 v6, v6, v82
	v_fmac_f32_e32 v83, 0x3f116cb1, v61
	v_add_f32_e32 v17, v5, v17
	v_fma_f32 v119, v58, s6, -v118
	v_add_f32_e32 v24, v32, v24
	v_add_f32_e32 v6, v6, v83
	v_fmac_f32_e32 v84, 0xbf788fa5, v64
	v_add_f32_e32 v17, v17, v119
	v_mul_f32_e32 v119, 0xbe750f2a, v62
	v_add_f32_e32 v21, v34, v24
	v_add_f32_e32 v6, v6, v84
	v_fmac_f32_e32 v85, 0x3f62ad3f, v67
	v_fma_f32 v24, v72, s6, -v86
	v_fma_f32 v120, v61, s0, -v119
	v_add_f32_e32 v6, v6, v85
	v_add_f32_e32 v25, v4, v24
	v_fmac_f32_e32 v87, 0xbeb58ec6, v73
	v_fma_f32 v4, v33, s6, -v88
	v_add_f32_e32 v17, v17, v120
	v_mul_f32_e32 v120, 0x3f29c268, v65
	v_add_f32_e32 v24, v6, v87
	v_add_f32_e32 v4, v7, v4
	v_fma_f32 v6, v35, s1, -v89
	v_fma_f32 v121, v64, s1, -v120
	v_add_f32_e32 v4, v4, v6
	v_fma_f32 v6, v37, s4, -v90
	v_add_f32_e32 v17, v17, v121
	v_mul_f32_e32 v121, 0x3f7e222b, v68
	v_add_f32_e32 v4, v4, v6
	v_fma_f32 v6, v41, s7, -v91
	v_fma_f32 v122, v67, s7, -v121
	v_mul_f32_e32 v123, 0x3eedf032, v70
	v_add_f32_e32 v4, v4, v6
	v_fma_f32 v6, v45, s0, -v92
	v_fmac_f32_e32 v93, 0xbeb58ec6, v44
	v_add_f32_e32 v122, v17, v122
	v_mov_b32_e32 v17, v123
	v_add_f32_e32 v4, v4, v6
	v_add_f32_e32 v6, v5, v93
	v_fmac_f32_e32 v94, 0xbf3f9e67, v58
	v_fmac_f32_e32 v17, 0x3f62ad3f, v72
	v_mul_f32_e32 v124, 0x3eedf032, v74
	v_add_f32_e32 v6, v6, v94
	v_fmac_f32_e32 v95, 0x3f62ad3f, v61
	v_add_f32_e32 v17, v16, v17
	v_fma_f32 v16, v73, s4, -v124
	v_add_f32_e32 v6, v6, v95
	v_fmac_f32_e32 v96, 0x3df6dbef, v64
	v_add_f32_e32 v16, v122, v16
	v_mul_f32_e32 v122, 0xbeedf032, v18
	v_add_f32_e32 v6, v6, v96
	v_fmac_f32_e32 v97, 0xbf788fa5, v67
	v_fma_f32 v26, v72, s5, -v98
	v_mov_b32_e32 v18, v122
	v_mul_f32_e32 v125, 0xbf52af12, v19
	v_add_f32_e32 v6, v6, v97
	v_add_f32_e32 v27, v4, v26
	v_fmac_f32_e32 v99, 0x3f116cb1, v73
	v_fma_f32 v4, v33, s7, -v100
	v_fmac_f32_e32 v18, 0x3f62ad3f, v33
	v_mov_b32_e32 v19, v125
	v_add_f32_e32 v26, v6, v99
	v_add_f32_e32 v4, v7, v4
	v_fma_f32 v6, v35, s0, -v101
	v_add_f32_e32 v18, v7, v18
	v_fmac_f32_e32 v19, 0x3f116cb1, v35
	v_mul_f32_e32 v126, 0xbf7e222b, v31
	v_add_f32_e32 v4, v4, v6
	v_fma_f32 v6, v37, s6, -v102
	v_add_f32_e32 v18, v18, v19
	v_mov_b32_e32 v19, v126
	v_add_f32_e32 v4, v4, v6
	v_fma_f32 v6, v41, s4, -v103
	v_fmac_f32_e32 v19, 0x3df6dbef, v37
	v_mul_f32_e32 v39, 0xbf6f5d39, v39
	v_add_f32_e32 v4, v4, v6
	v_fma_f32 v6, v45, s5, -v104
	v_fmac_f32_e32 v105, 0x3df6dbef, v44
	v_add_f32_e32 v18, v18, v19
	v_mov_b32_e32 v19, v39
	v_add_f32_e32 v4, v4, v6
	v_add_f32_e32 v6, v5, v105
	v_fmac_f32_e32 v106, 0xbf788fa5, v58
	v_fmac_f32_e32 v19, 0xbeb58ec6, v41
	v_mul_f32_e32 v43, 0xbf29c268, v43
	v_add_f32_e32 v6, v6, v106
	v_fmac_f32_e32 v107, 0xbeb58ec6, v61
	v_add_f32_e32 v18, v18, v19
	v_mov_b32_e32 v19, v43
	v_add_f32_e32 v6, v6, v107
	v_fmac_f32_e32 v108, 0x3f62ad3f, v64
	v_fmac_f32_e32 v19, 0xbf3f9e67, v45
	v_mul_f32_e32 v47, 0xbeedf032, v47
	v_add_f32_e32 v6, v6, v108
	v_fmac_f32_e32 v109, 0x3f116cb1, v67
	v_fma_f32 v28, v72, s1, -v110
	v_add_f32_e32 v18, v18, v19
	v_fma_f32 v19, v44, s4, -v47
	v_mul_f32_e32 v59, 0xbf52af12, v59
	v_add_f32_e32 v6, v6, v109
	v_add_f32_e32 v29, v4, v28
	v_fmac_f32_e32 v111, 0xbf3f9e67, v73
	v_fma_f32 v4, v33, s5, -v112
	v_add_f32_e32 v19, v5, v19
	v_fma_f32 v31, v58, s5, -v59
	v_mul_f32_e32 v62, 0xbf7e222b, v62
	v_add_f32_e32 v28, v6, v111
	v_add_f32_e32 v4, v7, v4
	v_fma_f32 v6, v35, s6, -v113
	v_add_f32_e32 v19, v19, v31
	v_fma_f32 v31, v61, s7, -v62
	v_mul_f32_e32 v65, 0xbf6f5d39, v65
	v_add_f32_e32 v4, v4, v6
	v_fma_f32 v6, v37, s0, -v114
	v_add_f32_e32 v19, v19, v31
	v_fma_f32 v31, v64, s6, -v65
	v_mul_f32_e32 v68, 0xbf29c268, v68
	;; [unrolled: 5-line block ×3, first 2 shown]
	v_add_f32_e32 v4, v4, v6
	v_fma_f32 v6, v45, s7, -v116
	v_fmac_f32_e32 v117, 0x3f116cb1, v44
	v_add_f32_e32 v31, v19, v31
	v_mov_b32_e32 v19, v70
	v_add_f32_e32 v4, v4, v6
	v_add_f32_e32 v6, v5, v117
	v_fmac_f32_e32 v118, 0xbeb58ec6, v58
	v_fmac_f32_e32 v19, 0xbf788fa5, v72
	v_mul_f32_e32 v74, 0xbe750f2a, v74
	v_add_f32_e32 v6, v6, v118
	v_fmac_f32_e32 v119, 0xbf788fa5, v61
	v_add_f32_e32 v19, v18, v19
	v_fma_f32 v18, v73, s0, -v74
	v_add_f32_e32 v6, v6, v119
	v_fma_f32 v30, v72, s4, -v123
	v_fmac_f32_e32 v120, 0xbf3f9e67, v64
	v_add_f32_e32 v18, v31, v18
	v_add_f32_e32 v31, v4, v30
	;; [unrolled: 1-line block ×3, first 2 shown]
	v_fmac_f32_e32 v121, 0x3df6dbef, v67
	v_add_f32_e32 v4, v4, v121
	v_fmac_f32_e32 v124, 0x3f62ad3f, v73
	v_add_f32_e32 v30, v4, v124
	v_fma_f32 v4, v33, s4, -v122
	v_add_f32_e32 v4, v7, v4
	v_fma_f32 v6, v35, s5, -v125
	;; [unrolled: 2-line block ×6, first 2 shown]
	v_fmac_f32_e32 v47, 0x3f62ad3f, v44
	v_add_f32_e32 v6, v4, v6
	v_add_f32_e32 v4, v5, v47
	v_fmac_f32_e32 v59, 0x3f116cb1, v58
	v_add_f32_e32 v4, v4, v59
	v_fmac_f32_e32 v62, 0x3df6dbef, v61
	;; [unrolled: 2-line block ×5, first 2 shown]
	v_add_f32_e32 v5, v4, v74
	v_mov_b32_e32 v4, s3
	v_add_co_u32_e32 v7, vcc, s2, v0
	v_addc_co_u32_e32 v4, vcc, v4, v1, vcc
	v_lshlrev_b64 v[0:1], 3, v[2:3]
	v_add_co_u32_e32 v0, vcc, v7, v0
	v_addc_co_u32_e32 v1, vcc, v4, v1, vcc
	v_add_co_u32_e32 v2, vcc, s8, v0
	v_addc_co_u32_e32 v3, vcc, 0, v1, vcc
	global_store_dwordx2 v[0:1], v[20:21], off
	global_store_dwordx2 v[0:1], v[18:19], off offset:936
	global_store_dwordx2 v[0:1], v[16:17], off offset:1872
	;; [unrolled: 1-line block ×4, first 2 shown]
	v_add_co_u32_e32 v0, vcc, 0x2000, v0
	v_addc_co_u32_e32 v1, vcc, 0, v1, vcc
	global_store_dwordx2 v[2:3], v[10:11], off offset:584
	global_store_dwordx2 v[2:3], v[8:9], off offset:1520
	;; [unrolled: 1-line block ×8, first 2 shown]
.LBB0_29:
	s_endpgm
	.section	.rodata,"a",@progbits
	.p2align	6, 0x0
	.amdhsa_kernel fft_rtc_fwd_len1521_factors_13_3_3_13_wgs_117_tpt_117_halfLds_sp_ip_CI_unitstride_sbrr_dirReg
		.amdhsa_group_segment_fixed_size 0
		.amdhsa_private_segment_fixed_size 0
		.amdhsa_kernarg_size 88
		.amdhsa_user_sgpr_count 6
		.amdhsa_user_sgpr_private_segment_buffer 1
		.amdhsa_user_sgpr_dispatch_ptr 0
		.amdhsa_user_sgpr_queue_ptr 0
		.amdhsa_user_sgpr_kernarg_segment_ptr 1
		.amdhsa_user_sgpr_dispatch_id 0
		.amdhsa_user_sgpr_flat_scratch_init 0
		.amdhsa_user_sgpr_private_segment_size 0
		.amdhsa_uses_dynamic_stack 0
		.amdhsa_system_sgpr_private_segment_wavefront_offset 0
		.amdhsa_system_sgpr_workgroup_id_x 1
		.amdhsa_system_sgpr_workgroup_id_y 0
		.amdhsa_system_sgpr_workgroup_id_z 0
		.amdhsa_system_sgpr_workgroup_info 0
		.amdhsa_system_vgpr_workitem_id 0
		.amdhsa_next_free_vgpr 127
		.amdhsa_next_free_sgpr 22
		.amdhsa_reserve_vcc 1
		.amdhsa_reserve_flat_scratch 0
		.amdhsa_float_round_mode_32 0
		.amdhsa_float_round_mode_16_64 0
		.amdhsa_float_denorm_mode_32 3
		.amdhsa_float_denorm_mode_16_64 3
		.amdhsa_dx10_clamp 1
		.amdhsa_ieee_mode 1
		.amdhsa_fp16_overflow 0
		.amdhsa_exception_fp_ieee_invalid_op 0
		.amdhsa_exception_fp_denorm_src 0
		.amdhsa_exception_fp_ieee_div_zero 0
		.amdhsa_exception_fp_ieee_overflow 0
		.amdhsa_exception_fp_ieee_underflow 0
		.amdhsa_exception_fp_ieee_inexact 0
		.amdhsa_exception_int_div_zero 0
	.end_amdhsa_kernel
	.text
.Lfunc_end0:
	.size	fft_rtc_fwd_len1521_factors_13_3_3_13_wgs_117_tpt_117_halfLds_sp_ip_CI_unitstride_sbrr_dirReg, .Lfunc_end0-fft_rtc_fwd_len1521_factors_13_3_3_13_wgs_117_tpt_117_halfLds_sp_ip_CI_unitstride_sbrr_dirReg
                                        ; -- End function
	.section	.AMDGPU.csdata,"",@progbits
; Kernel info:
; codeLenInByte = 10576
; NumSgprs: 26
; NumVgprs: 127
; ScratchSize: 0
; MemoryBound: 0
; FloatMode: 240
; IeeeMode: 1
; LDSByteSize: 0 bytes/workgroup (compile time only)
; SGPRBlocks: 3
; VGPRBlocks: 31
; NumSGPRsForWavesPerEU: 26
; NumVGPRsForWavesPerEU: 127
; Occupancy: 2
; WaveLimiterHint : 1
; COMPUTE_PGM_RSRC2:SCRATCH_EN: 0
; COMPUTE_PGM_RSRC2:USER_SGPR: 6
; COMPUTE_PGM_RSRC2:TRAP_HANDLER: 0
; COMPUTE_PGM_RSRC2:TGID_X_EN: 1
; COMPUTE_PGM_RSRC2:TGID_Y_EN: 0
; COMPUTE_PGM_RSRC2:TGID_Z_EN: 0
; COMPUTE_PGM_RSRC2:TIDIG_COMP_CNT: 0
	.type	__hip_cuid_b8f2eba3a91dba6c,@object ; @__hip_cuid_b8f2eba3a91dba6c
	.section	.bss,"aw",@nobits
	.globl	__hip_cuid_b8f2eba3a91dba6c
__hip_cuid_b8f2eba3a91dba6c:
	.byte	0                               ; 0x0
	.size	__hip_cuid_b8f2eba3a91dba6c, 1

	.ident	"AMD clang version 19.0.0git (https://github.com/RadeonOpenCompute/llvm-project roc-6.4.0 25133 c7fe45cf4b819c5991fe208aaa96edf142730f1d)"
	.section	".note.GNU-stack","",@progbits
	.addrsig
	.addrsig_sym __hip_cuid_b8f2eba3a91dba6c
	.amdgpu_metadata
---
amdhsa.kernels:
  - .args:
      - .actual_access:  read_only
        .address_space:  global
        .offset:         0
        .size:           8
        .value_kind:     global_buffer
      - .offset:         8
        .size:           8
        .value_kind:     by_value
      - .actual_access:  read_only
        .address_space:  global
        .offset:         16
        .size:           8
        .value_kind:     global_buffer
      - .actual_access:  read_only
        .address_space:  global
        .offset:         24
        .size:           8
        .value_kind:     global_buffer
      - .offset:         32
        .size:           8
        .value_kind:     by_value
      - .actual_access:  read_only
        .address_space:  global
        .offset:         40
        .size:           8
        .value_kind:     global_buffer
      - .actual_access:  read_only
        .address_space:  global
        .offset:         48
        .size:           8
        .value_kind:     global_buffer
      - .offset:         56
        .size:           4
        .value_kind:     by_value
      - .actual_access:  read_only
        .address_space:  global
        .offset:         64
        .size:           8
        .value_kind:     global_buffer
      - .actual_access:  read_only
        .address_space:  global
        .offset:         72
        .size:           8
        .value_kind:     global_buffer
      - .address_space:  global
        .offset:         80
        .size:           8
        .value_kind:     global_buffer
    .group_segment_fixed_size: 0
    .kernarg_segment_align: 8
    .kernarg_segment_size: 88
    .language:       OpenCL C
    .language_version:
      - 2
      - 0
    .max_flat_workgroup_size: 117
    .name:           fft_rtc_fwd_len1521_factors_13_3_3_13_wgs_117_tpt_117_halfLds_sp_ip_CI_unitstride_sbrr_dirReg
    .private_segment_fixed_size: 0
    .sgpr_count:     26
    .sgpr_spill_count: 0
    .symbol:         fft_rtc_fwd_len1521_factors_13_3_3_13_wgs_117_tpt_117_halfLds_sp_ip_CI_unitstride_sbrr_dirReg.kd
    .uniform_work_group_size: 1
    .uses_dynamic_stack: false
    .vgpr_count:     127
    .vgpr_spill_count: 0
    .wavefront_size: 64
amdhsa.target:   amdgcn-amd-amdhsa--gfx906
amdhsa.version:
  - 1
  - 2
...

	.end_amdgpu_metadata
